;; amdgpu-corpus repo=ROCm/rocFFT kind=compiled arch=gfx1030 opt=O3
	.text
	.amdgcn_target "amdgcn-amd-amdhsa--gfx1030"
	.amdhsa_code_object_version 6
	.protected	bluestein_single_back_len416_dim1_sp_op_CI_CI ; -- Begin function bluestein_single_back_len416_dim1_sp_op_CI_CI
	.globl	bluestein_single_back_len416_dim1_sp_op_CI_CI
	.p2align	8
	.type	bluestein_single_back_len416_dim1_sp_op_CI_CI,@function
bluestein_single_back_len416_dim1_sp_op_CI_CI: ; @bluestein_single_back_len416_dim1_sp_op_CI_CI
; %bb.0:
	s_load_dwordx4 s[8:11], s[4:5], 0x28
	v_lshrrev_b32_e32 v1, 5, v0
	v_mov_b32_e32 v25, 0
	s_mov_b32 s0, exec_lo
	v_lshl_or_b32 v57, s6, 1, v1
	v_mov_b32_e32 v58, v25
	s_waitcnt lgkmcnt(0)
	v_cmpx_gt_u64_e64 s[8:9], v[57:58]
	s_cbranch_execz .LBB0_18
; %bb.1:
	s_clause 0x1
	s_load_dwordx4 s[0:3], s[4:5], 0x18
	s_load_dwordx4 s[12:15], s[4:5], 0x0
	v_and_b32_e32 v104, 31, v0
	v_and_b32_e32 v0, 32, v0
	v_or_b32_e32 v7, 0x100, v104
	v_or_b32_e32 v8, 0x120, v104
	;; [unrolled: 1-line block ×5, first 2 shown]
	v_lshlrev_b32_e32 v111, 3, v7
	v_lshlrev_b32_e32 v110, 3, v8
	;; [unrolled: 1-line block ×6, first 2 shown]
	s_waitcnt lgkmcnt(0)
	s_load_dwordx4 s[16:19], s[0:1], 0x0
	s_clause 0xa
	global_load_dwordx2 v[82:83], v56, s[12:13]
	global_load_dwordx2 v[80:81], v56, s[12:13] offset:256
	global_load_dwordx2 v[78:79], v56, s[12:13] offset:512
	;; [unrolled: 1-line block ×7, first 2 shown]
	global_load_dwordx2 v[60:61], v111, s[12:13]
	global_load_dwordx2 v[62:63], v110, s[12:13]
	;; [unrolled: 1-line block ×3, first 2 shown]
	s_waitcnt lgkmcnt(0)
	v_mad_u64_u32 v[1:2], null, s18, v57, 0
	v_mad_u64_u32 v[3:4], null, s16, v104, 0
	s_lshl_b64 s[0:1], s[16:17], 8
	v_mad_u64_u32 v[5:6], null, s19, v57, v[2:3]
	v_mad_u64_u32 v[6:7], null, s17, v104, v[4:5]
	v_mov_b32_e32 v2, v5
	v_lshlrev_b64 v[1:2], 3, v[1:2]
	v_mov_b32_e32 v4, v6
	v_add_co_u32 v1, vcc_lo, s10, v1
	v_lshlrev_b64 v[3:4], 3, v[3:4]
	v_add_co_ci_u32_e32 v2, vcc_lo, s11, v2, vcc_lo
	v_add_co_u32 v1, vcc_lo, v1, v3
	v_add_co_ci_u32_e32 v2, vcc_lo, v2, v4, vcc_lo
	v_add_co_u32 v3, vcc_lo, v1, s0
	v_add_co_ci_u32_e32 v4, vcc_lo, s1, v2, vcc_lo
	global_load_dwordx2 v[1:2], v[1:2], off
	v_add_co_u32 v5, vcc_lo, v3, s0
	v_add_co_ci_u32_e32 v6, vcc_lo, s1, v4, vcc_lo
	v_add_co_u32 v7, vcc_lo, v5, s0
	v_add_co_ci_u32_e32 v8, vcc_lo, s1, v6, vcc_lo
	s_clause 0x1
	global_load_dwordx2 v[3:4], v[3:4], off
	global_load_dwordx2 v[5:6], v[5:6], off
	v_add_co_u32 v9, vcc_lo, v7, s0
	v_add_co_ci_u32_e32 v10, vcc_lo, s1, v8, vcc_lo
	v_add_co_u32 v11, vcc_lo, v9, s0
	v_add_co_ci_u32_e32 v12, vcc_lo, s1, v10, vcc_lo
	s_clause 0x1
	global_load_dwordx2 v[7:8], v[7:8], off
	global_load_dwordx2 v[9:10], v[9:10], off
	v_add_co_u32 v13, vcc_lo, v11, s0
	v_add_co_ci_u32_e32 v14, vcc_lo, s1, v12, vcc_lo
	global_load_dwordx2 v[11:12], v[11:12], off
	v_add_co_u32 v15, vcc_lo, v13, s0
	v_add_co_ci_u32_e32 v16, vcc_lo, s1, v14, vcc_lo
	;; [unrolled: 3-line block ×7, first 2 shown]
	global_load_dwordx2 v[66:67], v108, s[12:13]
	global_load_dwordx2 v[29:30], v[23:24], off
	global_load_dwordx2 v[68:69], v107, s[12:13]
	global_load_dwordx2 v[26:27], v[26:27], off
	v_cmp_ne_u32_e32 vcc_lo, 0, v0
	s_load_dwordx4 s[8:11], s[2:3], 0x0
	s_load_dwordx2 s[2:3], s[4:5], 0x38
	v_cndmask_b32_e64 v112, 0, 0x1a0, vcc_lo
	v_or_b32_e32 v23, v112, v104
	v_lshl_or_b32 v105, v112, 3, v56
	v_lshlrev_b32_e32 v106, 3, v23
	v_add_nc_u32_e32 v28, 0x400, v105
	v_add_nc_u32_e32 v24, 0x800, v105
	s_waitcnt vmcnt(14)
	v_mul_f32_e32 v0, v2, v83
	v_mul_f32_e32 v23, v1, v83
	v_fmac_f32_e32 v0, v1, v82
	v_fma_f32 v1, v2, v82, -v23
	s_waitcnt vmcnt(13)
	v_mul_f32_e32 v31, v4, v81
	v_mul_f32_e32 v32, v3, v81
	s_waitcnt vmcnt(12)
	v_mul_f32_e32 v33, v6, v79
	v_mul_f32_e32 v34, v5, v79
	ds_write_b64 v106, v[0:1]
	v_fmac_f32_e32 v31, v3, v80
	v_fma_f32 v32, v4, v80, -v32
	v_fmac_f32_e32 v33, v5, v78
	v_fma_f32 v34, v6, v78, -v34
	s_waitcnt vmcnt(11)
	v_mul_f32_e32 v0, v8, v75
	v_mul_f32_e32 v1, v7, v75
	s_waitcnt vmcnt(10)
	v_mul_f32_e32 v2, v10, v77
	v_mul_f32_e32 v3, v9, v77
	ds_write2_b64 v105, v[31:32], v[33:34] offset0:32 offset1:64
	v_fmac_f32_e32 v0, v7, v74
	s_waitcnt vmcnt(9)
	v_mul_f32_e32 v4, v12, v73
	v_mul_f32_e32 v5, v11, v73
	v_fma_f32 v1, v8, v74, -v1
	v_fmac_f32_e32 v2, v9, v76
	v_fma_f32 v3, v10, v76, -v3
	s_waitcnt vmcnt(8)
	v_mul_f32_e32 v6, v14, v71
	v_mul_f32_e32 v7, v13, v71
	v_fmac_f32_e32 v4, v11, v72
	v_fma_f32 v5, v12, v72, -v5
	s_waitcnt vmcnt(7)
	v_mul_f32_e32 v8, v16, v65
	v_mul_f32_e32 v9, v15, v65
	;; [unrolled: 5-line block ×5, first 2 shown]
	v_fmac_f32_e32 v12, v19, v62
	s_waitcnt vmcnt(2)
	v_mul_f32_e32 v16, v30, v67
	v_mul_f32_e32 v17, v29, v67
	s_waitcnt vmcnt(0)
	v_mul_f32_e32 v18, v27, v69
	v_mul_f32_e32 v19, v26, v69
	v_fma_f32 v13, v20, v62, -v13
	v_fmac_f32_e32 v14, v21, v58
	v_fma_f32 v15, v22, v58, -v15
	v_fmac_f32_e32 v16, v29, v66
	;; [unrolled: 2-line block ×3, first 2 shown]
	v_fma_f32 v19, v27, v68, -v19
	ds_write2_b64 v105, v[0:1], v[2:3] offset0:96 offset1:128
	ds_write2_b64 v105, v[4:5], v[6:7] offset0:160 offset1:192
	ds_write2_b64 v28, v[8:9], v[10:11] offset0:96 offset1:128
	ds_write2_b64 v24, v[12:13], v[14:15] offset0:32 offset1:64
	ds_write2_b64 v24, v[16:17], v[18:19] offset0:96 offset1:128
	s_waitcnt lgkmcnt(0)
	s_barrier
	buffer_gl0_inv
	ds_read_b64 v[26:27], v106
	ds_read2_b64 v[20:23], v105 offset0:32 offset1:64
	ds_read2_b64 v[0:3], v24 offset0:96 offset1:128
	ds_read2_b64 v[16:19], v105 offset0:96 offset1:128
	ds_read2_b64 v[4:7], v24 offset0:32 offset1:64
	ds_read2_b64 v[12:15], v105 offset0:160 offset1:192
	ds_read2_b64 v[8:11], v28 offset0:96 offset1:128
	s_waitcnt lgkmcnt(0)
	s_barrier
	buffer_gl0_inv
	v_add_f32_e32 v29, v26, v20
	v_add_f32_e32 v30, v27, v21
	;; [unrolled: 1-line block ×4, first 2 shown]
	v_sub_f32_e32 v35, v22, v0
	v_sub_f32_e32 v36, v23, v1
	v_add_f32_e32 v22, v29, v22
	v_add_f32_e32 v23, v30, v23
	;; [unrolled: 1-line block ×4, first 2 shown]
	v_sub_f32_e32 v20, v20, v2
	v_sub_f32_e32 v21, v21, v3
	v_add_f32_e32 v37, v6, v16
	v_add_f32_e32 v38, v7, v17
	v_sub_f32_e32 v39, v16, v6
	v_sub_f32_e32 v40, v17, v7
	v_add_f32_e32 v16, v22, v16
	v_add_f32_e32 v17, v23, v17
	v_mul_f32_e32 v29, 0xbeedf032, v21
	v_mul_f32_e32 v30, 0xbeedf032, v20
	v_mul_f32_e32 v53, 0xbf52af12, v21
	v_mul_f32_e32 v55, 0xbf7e222b, v21
	v_mul_f32_e32 v85, 0xbf6f5d39, v21
	v_mul_f32_e32 v86, 0xbf29c268, v21
	v_mul_f32_e32 v21, 0xbe750f2a, v21
	v_add_f32_e32 v16, v16, v18
	v_add_f32_e32 v17, v17, v19
	;; [unrolled: 1-line block ×4, first 2 shown]
	v_sub_f32_e32 v47, v12, v10
	v_sub_f32_e32 v48, v13, v11
	v_mul_f32_e32 v54, 0xbf52af12, v20
	v_mul_f32_e32 v84, 0xbf7e222b, v20
	;; [unrolled: 1-line block ×12, first 2 shown]
	v_fma_f32 v22, 0x3f62ad3f, v31, -v29
	v_fmac_f32_e32 v29, 0x3f62ad3f, v31
	v_fma_f32 v23, 0x3f116cb1, v31, -v53
	v_fmac_f32_e32 v53, 0x3f116cb1, v31
	;; [unrolled: 2-line block ×6, first 2 shown]
	v_fmamk_f32 v31, v32, 0x3f62ad3f, v30
	v_add_f32_e32 v12, v16, v12
	v_add_f32_e32 v13, v17, v13
	;; [unrolled: 1-line block ×3, first 2 shown]
	v_sub_f32_e32 v43, v18, v4
	v_sub_f32_e32 v44, v19, v5
	v_mul_f32_e32 v95, 0xbf6f5d39, v35
	v_mul_f32_e32 v96, 0xbe750f2a, v35
	;; [unrolled: 1-line block ×12, first 2 shown]
	v_fma_f32 v30, 0x3f62ad3f, v32, -v30
	v_fmamk_f32 v145, v32, 0x3f116cb1, v54
	v_fma_f32 v54, 0x3f116cb1, v32, -v54
	v_fmamk_f32 v146, v32, 0x3df6dbef, v84
	;; [unrolled: 2-line block ×5, first 2 shown]
	v_fma_f32 v20, 0xbf788fa5, v32, -v20
	v_fma_f32 v32, 0x3f116cb1, v33, -v89
	v_fmac_f32_e32 v89, 0x3f116cb1, v33
	v_fma_f32 v150, 0xbeb58ec6, v33, -v90
	v_fmac_f32_e32 v90, 0xbeb58ec6, v33
	;; [unrolled: 2-line block ×6, first 2 shown]
	v_fmamk_f32 v33, v34, 0x3f116cb1, v94
	v_add_f32_e32 v19, v27, v31
	v_add_f32_e32 v12, v12, v14
	;; [unrolled: 1-line block ×6, first 2 shown]
	v_sub_f32_e32 v51, v14, v8
	v_sub_f32_e32 v52, v15, v9
	v_mul_f32_e32 v114, 0xbe750f2a, v39
	v_mul_f32_e32 v115, 0x3f6f5d39, v39
	;; [unrolled: 1-line block ×12, first 2 shown]
	v_fma_f32 v94, 0x3f116cb1, v34, -v94
	v_fmamk_f32 v155, v34, 0xbeb58ec6, v95
	v_fma_f32 v95, 0xbeb58ec6, v34, -v95
	v_fmamk_f32 v156, v34, 0xbf788fa5, v96
	;; [unrolled: 2-line block ×5, first 2 shown]
	v_fma_f32 v34, 0x3f62ad3f, v34, -v35
	v_fma_f32 v35, 0x3df6dbef, v37, -v99
	v_fmac_f32_e32 v99, 0x3df6dbef, v37
	v_fma_f32 v160, 0xbf788fa5, v37, -v100
	v_fmac_f32_e32 v100, 0xbf788fa5, v37
	;; [unrolled: 2-line block ×6, first 2 shown]
	v_fmamk_f32 v37, v38, 0x3df6dbef, v113
	v_add_f32_e32 v18, v26, v22
	v_add_f32_e32 v22, v26, v29
	;; [unrolled: 1-line block ×9, first 2 shown]
	v_mul_f32_e32 v124, 0x3f29c268, v43
	v_mul_f32_e32 v125, 0x3eedf032, v43
	v_mul_f32_e32 v126, 0xbf7e222b, v43
	v_mul_f32_e32 v127, 0x3e750f2a, v43
	v_mul_f32_e32 v43, 0x3f52af12, v43
	v_mul_f32_e32 v128, 0xbf29c268, v48
	v_mul_f32_e32 v129, 0x3f7e222b, v48
	v_mul_f32_e32 v130, 0xbf52af12, v48
	v_mul_f32_e32 v131, 0x3e750f2a, v48
	v_mul_f32_e32 v132, 0x3eedf032, v48
	v_mul_f32_e32 v48, 0xbf6f5d39, v48
	v_mul_f32_e32 v133, 0xbf29c268, v47
	v_fma_f32 v113, 0x3df6dbef, v38, -v113
	v_fmamk_f32 v165, v38, 0xbf788fa5, v114
	v_fma_f32 v114, 0xbf788fa5, v38, -v114
	v_fmamk_f32 v166, v38, 0xbeb58ec6, v115
	v_fma_f32 v115, 0xbeb58ec6, v38, -v115
	v_fmamk_f32 v167, v38, 0x3f62ad3f, v116
	v_fma_f32 v116, 0x3f62ad3f, v38, -v116
	v_fmamk_f32 v168, v38, 0x3f116cb1, v117
	v_fma_f32 v117, 0x3f116cb1, v38, -v117
	v_fmamk_f32 v169, v38, 0xbf3f9e67, v39
	v_fma_f32 v38, 0xbf3f9e67, v38, -v39
	v_fma_f32 v39, 0xbeb58ec6, v41, -v118
	v_fmac_f32_e32 v118, 0xbeb58ec6, v41
	v_fma_f32 v170, 0xbf3f9e67, v41, -v119
	v_fmac_f32_e32 v119, 0xbf3f9e67, v41
	;; [unrolled: 2-line block ×6, first 2 shown]
	v_fmamk_f32 v41, v42, 0xbeb58ec6, v123
	v_add_f32_e32 v53, v27, v54
	v_add_f32_e32 v54, v26, v141
	v_add_f32_e32 v141, v27, v146
	v_add_f32_e32 v55, v26, v55
	v_add_f32_e32 v142, v26, v142
	v_add_f32_e32 v85, v26, v85
	v_add_f32_e32 v143, v26, v143
	v_add_f32_e32 v86, v26, v86
	v_add_f32_e32 v144, v26, v144
	v_add_f32_e32 v21, v26, v21
	v_add_f32_e32 v16, v32, v18
	v_add_f32_e32 v18, v89, v22
	v_add_f32_e32 v19, v94, v29
	v_add_f32_e32 v22, v150, v23
	v_add_f32_e32 v23, v155, v30
	v_add_f32_e32 v26, v90, v31
	v_add_f32_e32 v15, v37, v17
	v_add_f32_e32 v8, v8, v10
	v_add_f32_e32 v9, v9, v11
	v_mul_f32_e32 v134, 0x3f7e222b, v47
	v_mul_f32_e32 v139, 0xbe750f2a, v51
	v_fma_f32 v123, 0xbeb58ec6, v42, -v123
	v_fmamk_f32 v175, v42, 0xbf3f9e67, v124
	v_fma_f32 v124, 0xbf3f9e67, v42, -v124
	v_fmamk_f32 v176, v42, 0x3f62ad3f, v125
	;; [unrolled: 2-line block ×5, first 2 shown]
	v_fma_f32 v42, 0x3f116cb1, v42, -v43
	v_fma_f32 v43, 0xbf3f9e67, v45, -v128
	v_fmac_f32_e32 v128, 0xbf3f9e67, v45
	v_fma_f32 v180, 0x3df6dbef, v45, -v129
	v_fmac_f32_e32 v129, 0x3df6dbef, v45
	;; [unrolled: 2-line block ×6, first 2 shown]
	v_fmamk_f32 v45, v46, 0xbf3f9e67, v133
	v_add_f32_e32 v84, v27, v84
	v_add_f32_e32 v145, v27, v147
	;; [unrolled: 1-line block ×18, first 2 shown]
	v_mul_f32_e32 v135, 0xbf52af12, v47
	v_mul_f32_e32 v136, 0x3e750f2a, v47
	;; [unrolled: 1-line block ×6, first 2 shown]
	v_fma_f32 v133, 0xbf3f9e67, v46, -v133
	v_fmamk_f32 v185, v46, 0x3df6dbef, v134
	v_fmamk_f32 v190, v50, 0xbf788fa5, v139
	v_add_f32_e32 v29, v151, v54
	v_add_f32_e32 v31, v91, v55
	;; [unrolled: 1-line block ×15, first 2 shown]
	v_mul_f32_e32 v7, 0x3eedf032, v51
	v_add_f32_e32 v54, v92, v85
	v_add_f32_e32 v53, v157, v145
	;; [unrolled: 1-line block ×7, first 2 shown]
	v_fma_f32 v134, 0x3df6dbef, v46, -v134
	v_fmamk_f32 v186, v46, 0x3f116cb1, v135
	v_fma_f32 v135, 0x3f116cb1, v46, -v135
	v_fmamk_f32 v187, v46, 0xbf788fa5, v136
	;; [unrolled: 2-line block ×4, first 2 shown]
	v_fma_f32 v46, 0xbeb58ec6, v46, -v47
	v_fma_f32 v47, 0xbf788fa5, v49, -v138
	v_fmac_f32_e32 v138, 0xbf788fa5, v49
	v_fma_f32 v139, 0xbf788fa5, v50, -v139
	v_fma_f32 v191, 0x3f62ad3f, v49, -v140
	v_add_f32_e32 v84, v153, v143
	v_add_f32_e32 v86, v93, v86
	;; [unrolled: 1-line block ×19, first 2 shown]
	v_fmamk_f32 v8, v50, 0x3f62ad3f, v7
	v_fmac_f32_e32 v140, 0x3f62ad3f, v49
	v_mul_f32_e32 v11, 0xbf29c268, v51
	v_add_f32_e32 v33, v102, v54
	v_add_f32_e32 v32, v167, v53
	;; [unrolled: 1-line block ×21, first 2 shown]
	v_mul_f32_e32 v12, 0xbf29c268, v52
	v_fma_f32 v9, 0x3f62ad3f, v50, -v7
	v_add_f32_e32 v7, v8, v15
	v_add_f32_e32 v8, v140, v16
	v_fmamk_f32 v13, v50, 0xbf3f9e67, v11
	v_mul_f32_e32 v16, 0x3f52af12, v52
	v_add_f32_e32 v31, v121, v33
	v_add_f32_e32 v30, v177, v32
	;; [unrolled: 1-line block ×17, first 2 shown]
	v_fma_f32 v10, 0xbf3f9e67, v49, -v12
	v_add_f32_e32 v9, v9, v17
	v_fmac_f32_e32 v12, 0xbf3f9e67, v49
	v_fma_f32 v14, 0xbf3f9e67, v50, -v11
	v_add_f32_e32 v11, v13, v19
	v_fma_f32 v15, 0x3f116cb1, v49, -v16
	v_mul_f32_e32 v17, 0x3f52af12, v51
	v_mul_f32_e32 v19, 0xbf6f5d39, v51
	v_add_f32_e32 v29, v131, v31
	v_fmac_f32_e32 v16, 0x3f116cb1, v49
	v_add_f32_e32 v27, v187, v30
	v_add_f32_e32 v30, v136, v32
	;; [unrolled: 1-line block ×6, first 2 shown]
	v_mul_f32_e32 v20, 0xbf6f5d39, v52
	v_add_f32_e32 v31, v183, v33
	v_add_f32_e32 v33, v132, v35
	;; [unrolled: 1-line block ×7, first 2 shown]
	v_fmamk_f32 v15, v50, 0x3f116cb1, v17
	v_fma_f32 v17, 0x3f116cb1, v50, -v17
	v_fmamk_f32 v21, v50, 0xbeb58ec6, v19
	v_fma_f32 v22, 0xbeb58ec6, v50, -v19
	v_mul_f32_e32 v26, 0x3f7e222b, v52
	v_mul_f32_e32 v23, 0x3f7e222b, v51
	v_add_f32_e32 v16, v16, v29
	v_mul_u32_u24_e32 v29, 13, v104
	v_add_f32_e32 v10, v10, v18
	v_fma_f32 v18, 0xbeb58ec6, v49, -v20
	v_add_f32_e32 v15, v15, v27
	v_add_f32_e32 v17, v17, v30
	v_add_f32_e32 v19, v21, v32
	v_add_f32_e32 v21, v22, v34
	v_fma_f32 v22, 0x3df6dbef, v49, -v26
	v_fmamk_f32 v27, v50, 0x3df6dbef, v23
	v_fmac_f32_e32 v26, 0x3df6dbef, v49
	v_fma_f32 v30, 0x3df6dbef, v50, -v23
	v_fmac_f32_e32 v20, 0xbeb58ec6, v49
	v_add_lshl_u32 v113, v112, v29, 3
	v_add_f32_e32 v18, v18, v31
	v_add_f32_e32 v22, v22, v35
	;; [unrolled: 1-line block ×6, first 2 shown]
	ds_write2_b64 v113, v[2:3], v[4:5] offset1:1
	ds_write2_b64 v113, v[6:7], v[10:11] offset0:2 offset1:3
	ds_write2_b64 v113, v[14:15], v[18:19] offset0:4 offset1:5
	ds_write2_b64 v113, v[22:23], v[26:27] offset0:6 offset1:7
	ds_write2_b64 v113, v[20:21], v[16:17] offset0:8 offset1:9
	ds_write2_b64 v113, v[12:13], v[8:9] offset0:10 offset1:11
	ds_write_b64 v113, v[0:1] offset:96
	s_waitcnt lgkmcnt(0)
	s_barrier
	buffer_gl0_inv
	ds_read2_b64 v[4:7], v105 offset0:160 offset1:208
	ds_read2_b64 v[8:11], v105 offset0:32 offset1:64
	;; [unrolled: 1-line block ×5, first 2 shown]
	ds_read_b64 v[26:27], v106
	ds_read_b64 v[29:30], v105 offset:2944
	v_or_b32_e32 v24, 0xc0, v104
	v_cmp_gt_u64_e32 vcc_lo, 0xd0, v[24:25]
	s_and_saveexec_b32 s0, vcc_lo
	s_cbranch_execz .LBB0_3
; %bb.2:
	v_add_nc_u32_e32 v0, 0x600, v105
	ds_read2_b64 v[0:3], v0 offset1:208
.LBB0_3:
	s_or_b32 exec_lo, exec_lo, s0
	v_or_b32_e32 v25, 32, v104
	v_or_b32_e32 v33, 0x60, v104
	;; [unrolled: 1-line block ×3, first 2 shown]
	v_mul_lo_u16 v28, v104, 20
	v_or_b32_e32 v35, 0x80, v104
	v_mul_lo_u16 v34, v25, 20
	v_mul_lo_u16 v39, 0x4f, v33
	v_or_b32_e32 v36, 0xa0, v104
	v_mul_lo_u16 v38, 0x4f, v32
	v_lshrrev_b16 v28, 8, v28
	v_lshrrev_b16 v34, 8, v34
	v_mul_lo_u16 v40, 0x4f, v35
	v_lshrrev_b16 v39, 10, v39
	v_mul_lo_u16 v43, 0x4f, v36
	;; [unrolled: 2-line block ×3, first 2 shown]
	v_mul_lo_u16 v37, 0x4f, v24
	v_mul_lo_u16 v41, v28, 13
	v_lshrrev_b16 v40, 10, v40
	v_mul_lo_u16 v44, v39, 13
	v_sub_nc_u16 v25, v25, v42
	v_mul_lo_u16 v42, v38, 13
	v_lshrrev_b16 v43, 10, v43
	v_lshrrev_b16 v114, 10, v37
	v_mov_b32_e32 v31, 3
	v_sub_nc_u16 v41, v104, v41
	v_sub_nc_u16 v33, v33, v44
	v_mul_lo_u16 v37, v40, 13
	v_sub_nc_u16 v32, v32, v42
	v_mul_lo_u16 v42, v43, 13
	v_mul_lo_u16 v44, v114, 13
	v_lshlrev_b32_sdwa v45, v31, v41 dst_sel:DWORD dst_unused:UNUSED_PAD src0_sel:DWORD src1_sel:BYTE_0
	v_lshlrev_b32_sdwa v46, v31, v25 dst_sel:DWORD dst_unused:UNUSED_PAD src0_sel:DWORD src1_sel:BYTE_0
	v_sub_nc_u16 v35, v35, v37
	v_lshlrev_b32_sdwa v37, v31, v33 dst_sel:DWORD dst_unused:UNUSED_PAD src0_sel:DWORD src1_sel:BYTE_0
	v_sub_nc_u16 v36, v36, v42
	v_sub_nc_u16 v115, v24, v44
	s_clause 0x1
	global_load_dwordx2 v[96:97], v45, s[14:15]
	global_load_dwordx2 v[94:95], v46, s[14:15]
	v_lshlrev_b32_sdwa v24, v31, v35 dst_sel:DWORD dst_unused:UNUSED_PAD src0_sel:DWORD src1_sel:BYTE_0
	global_load_dwordx2 v[90:91], v37, s[14:15]
	v_lshlrev_b32_sdwa v45, v31, v32 dst_sel:DWORD dst_unused:UNUSED_PAD src0_sel:DWORD src1_sel:BYTE_0
	v_lshlrev_b32_sdwa v42, v31, v36 dst_sel:DWORD dst_unused:UNUSED_PAD src0_sel:DWORD src1_sel:BYTE_0
	;; [unrolled: 1-line block ×3, first 2 shown]
	v_mad_u16 v28, v28, 26, v41
	v_mad_u16 v25, v34, 26, v25
	s_clause 0x3
	global_load_dwordx2 v[92:93], v45, s[14:15]
	global_load_dwordx2 v[88:89], v24, s[14:15]
	;; [unrolled: 1-line block ×4, first 2 shown]
	v_mov_b32_e32 v24, 26
	v_mul_lo_u16 v31, v38, 26
	v_and_b32_e32 v28, 0xff, v28
	v_and_b32_e32 v25, 0xff, v25
	s_waitcnt vmcnt(0) lgkmcnt(0)
	v_mul_u32_u24_sdwa v37, v39, v24 dst_sel:DWORD dst_unused:UNUSED_PAD src0_sel:WORD_0 src1_sel:DWORD
	v_mul_u32_u24_sdwa v38, v40, v24 dst_sel:DWORD dst_unused:UNUSED_PAD src0_sel:WORD_0 src1_sel:DWORD
	;; [unrolled: 1-line block ×3, first 2 shown]
	v_add_nc_u32_sdwa v31, v31, v32 dst_sel:DWORD dst_unused:UNUSED_PAD src0_sel:WORD_0 src1_sel:BYTE_0
	v_add_lshl_u32 v120, v112, v28, 3
	v_add_nc_u32_sdwa v32, v37, v33 dst_sel:DWORD dst_unused:UNUSED_PAD src0_sel:DWORD src1_sel:BYTE_0
	v_add_nc_u32_sdwa v33, v38, v35 dst_sel:DWORD dst_unused:UNUSED_PAD src0_sel:DWORD src1_sel:BYTE_0
	;; [unrolled: 1-line block ×3, first 2 shown]
	v_add_lshl_u32 v119, v112, v31, 3
	v_add_lshl_u32 v121, v112, v25, 3
	;; [unrolled: 1-line block ×5, first 2 shown]
	s_barrier
	buffer_gl0_inv
	v_mul_f32_e32 v28, v7, v97
	v_mul_f32_e32 v31, v6, v97
	;; [unrolled: 1-line block ×5, first 2 shown]
	v_fma_f32 v6, v6, v96, -v28
	v_fmac_f32_e32 v31, v7, v96
	v_mul_f32_e32 v7, v17, v95
	v_mul_f32_e32 v35, v23, v89
	;; [unrolled: 1-line block ×9, first 2 shown]
	v_fma_f32 v7, v16, v94, -v7
	v_fmac_f32_e32 v25, v17, v94
	v_fma_f32 v16, v18, v92, -v28
	v_fmac_f32_e32 v32, v19, v92
	;; [unrolled: 2-line block ×6, first 2 shown]
	v_sub_f32_e32 v28, v26, v6
	v_sub_f32_e32 v29, v27, v31
	v_sub_f32_e32 v48, v8, v7
	v_sub_f32_e32 v49, v9, v25
	v_sub_f32_e32 v44, v10, v16
	v_sub_f32_e32 v45, v11, v32
	v_sub_f32_e32 v40, v12, v17
	v_sub_f32_e32 v41, v13, v34
	v_sub_f32_e32 v36, v14, v18
	v_sub_f32_e32 v37, v15, v37
	v_sub_f32_e32 v32, v4, v19
	v_sub_f32_e32 v33, v5, v38
	v_sub_f32_e32 v52, v0, v2
	v_sub_f32_e32 v53, v1, v42
	v_fma_f32 v100, v26, 2.0, -v28
	v_fma_f32 v101, v27, 2.0, -v29
	;; [unrolled: 1-line block ×14, first 2 shown]
	ds_write2_b64 v120, v[100:101], v[28:29] offset1:13
	ds_write2_b64 v121, v[30:31], v[48:49] offset1:13
	;; [unrolled: 1-line block ×6, first 2 shown]
	s_and_saveexec_b32 s0, vcc_lo
	s_cbranch_execz .LBB0_5
; %bb.4:
	v_mul_u32_u24_sdwa v0, v114, v24 dst_sel:DWORD dst_unused:UNUSED_PAD src0_sel:WORD_0 src1_sel:DWORD
	v_add_nc_u32_sdwa v0, v0, v115 dst_sel:DWORD dst_unused:UNUSED_PAD src0_sel:DWORD src1_sel:BYTE_0
	v_add_lshl_u32 v0, v112, v0, 3
	ds_write2_b64 v0, v[34:35], v[52:53] offset1:13
.LBB0_5:
	s_or_b32 exec_lo, exec_lo, s0
	v_cmp_gt_u32_e64 s0, 26, v104
	s_waitcnt lgkmcnt(0)
	s_barrier
	buffer_gl0_inv
                                        ; implicit-def: $vgpr102
	s_and_saveexec_b32 s1, s0
	s_cbranch_execz .LBB0_7
; %bb.6:
	v_add_nc_u32_e32 v0, 0x400, v105
	v_add_nc_u32_e32 v1, 0x800, v105
	ds_read2_b64 v[28:31], v105 offset0:26 offset1:52
	ds_read2_b64 v[48:51], v105 offset0:78 offset1:104
	;; [unrolled: 1-line block ×7, first 2 shown]
	ds_read_b64 v[100:101], v106
	ds_read_b64 v[102:103], v105 offset:3120
.LBB0_7:
	s_or_b32 exec_lo, exec_lo, s1
	v_subrev_nc_u32_e32 v0, 26, v104
	v_cndmask_b32_e64 v0, v0, v104, s0
	v_mul_i32_i24_e32 v1, 0x78, v0
	v_mul_hi_i32_i24_e32 v0, 0x78, v0
	v_add_co_u32 v98, s1, s14, v1
	v_add_co_ci_u32_e64 v99, s1, s15, v0, s1
	s_clause 0x7
	global_load_dwordx4 v[8:11], v[98:99], off offset:104
	global_load_dwordx4 v[4:7], v[98:99], off offset:120
	;; [unrolled: 1-line block ×7, first 2 shown]
	global_load_dwordx2 v[98:99], v[98:99], off offset:216
	s_waitcnt vmcnt(7) lgkmcnt(8)
	v_mul_f32_e32 v122, v29, v9
	v_mul_f32_e32 v123, v28, v9
	v_mul_f32_e32 v124, v31, v11
	v_mul_f32_e32 v125, v30, v11
	s_waitcnt vmcnt(6) lgkmcnt(7)
	v_mul_f32_e32 v126, v49, v5
	v_mul_f32_e32 v127, v48, v5
	v_mul_f32_e32 v128, v51, v7
	v_mul_f32_e32 v129, v50, v7
	;; [unrolled: 5-line block ×7, first 2 shown]
	s_waitcnt vmcnt(0) lgkmcnt(0)
	v_mul_f32_e32 v150, v103, v99
	v_mul_f32_e32 v151, v102, v99
	v_fma_f32 v28, v28, v8, -v122
	v_fmac_f32_e32 v123, v29, v8
	v_fma_f32 v29, v30, v10, -v124
	v_fmac_f32_e32 v125, v31, v10
	;; [unrolled: 2-line block ×15, first 2 shown]
	v_sub_f32_e32 v42, v100, v40
	v_sub_f32_e32 v51, v101, v137
	;; [unrolled: 1-line block ×16, first 2 shown]
	v_fma_f32 v38, v100, 2.0, -v42
	v_fma_f32 v45, v101, 2.0, -v51
	;; [unrolled: 1-line block ×13, first 2 shown]
	v_sub_f32_e32 v33, v42, v33
	v_add_f32_e32 v34, v51, v39
	v_sub_f32_e32 v128, v52, v37
	v_add_f32_e32 v131, v53, v35
	;; [unrolled: 2-line block ×4, first 2 shown]
	v_fma_f32 v48, v125, 2.0, -v53
	v_fma_f32 v44, v127, 2.0, -v103
	;; [unrolled: 1-line block ×3, first 2 shown]
	v_sub_f32_e32 v37, v38, v31
	v_fma_f32 v32, v42, 2.0, -v33
	v_fma_f32 v35, v51, 2.0, -v34
	v_sub_f32_e32 v122, v40, v29
	v_fma_f32 v29, v52, 2.0, -v128
	v_fma_f32 v31, v53, 2.0, -v131
	v_sub_f32_e32 v47, v49, v28
	v_fma_f32 v36, v36, 2.0, -v39
	v_fma_f32 v42, v54, 2.0, -v41
	v_sub_f32_e32 v130, v50, v30
	v_fma_f32 v28, v102, 2.0, -v132
	v_fma_f32 v30, v103, 2.0, -v133
	v_sub_f32_e32 v46, v45, v100
	v_sub_f32_e32 v127, v48, v101
	;; [unrolled: 1-line block ×4, first 2 shown]
	v_fmamk_f32 v53, v128, 0x3f3504f3, v33
	v_fmamk_f32 v102, v131, 0x3f3504f3, v34
	;; [unrolled: 1-line block ×8, first 2 shown]
	v_sub_f32_e32 v123, v37, v127
	v_add_f32_e32 v129, v46, v122
	v_fmac_f32_e32 v53, 0xbf3504f3, v131
	v_fmac_f32_e32 v102, 0x3f3504f3, v128
	v_sub_f32_e32 v128, v47, v124
	v_add_f32_e32 v131, v51, v130
	v_fmac_f32_e32 v125, 0xbf3504f3, v133
	v_fmac_f32_e32 v126, 0x3f3504f3, v132
	;; [unrolled: 1-line block ×6, first 2 shown]
	v_fmamk_f32 v30, v128, 0x3f3504f3, v123
	v_fmamk_f32 v31, v131, 0x3f3504f3, v129
	;; [unrolled: 1-line block ×6, first 2 shown]
	v_fmac_f32_e32 v30, 0xbf3504f3, v131
	v_fmac_f32_e32 v31, 0x3f3504f3, v128
	;; [unrolled: 1-line block ×6, first 2 shown]
	s_and_saveexec_b32 s1, s0
	s_cbranch_execz .LBB0_9
; %bb.8:
	v_fma_f32 v134, v45, 2.0, -v46
	v_fma_f32 v45, v48, 2.0, -v127
	;; [unrolled: 1-line block ×6, first 2 shown]
	v_sub_f32_e32 v130, v134, v45
	v_fma_f32 v38, v40, 2.0, -v122
	v_fma_f32 v122, v43, 2.0, -v51
	;; [unrolled: 1-line block ×11, first 2 shown]
	v_sub_f32_e32 v50, v127, v50
	v_sub_f32_e32 v124, v135, v38
	;; [unrolled: 1-line block ×3, first 2 shown]
	v_fma_f32 v33, v47, 2.0, -v128
	v_fmamk_f32 v46, v41, 0xbec3ef15, v102
	v_fmamk_f32 v45, v51, 0xbec3ef15, v125
	v_fma_f32 v47, v35, 2.0, -v55
	v_fma_f32 v53, v42, 2.0, -v103
	v_fmamk_f32 v34, v131, 0xbf3504f3, v129
	v_fma_f32 v37, v37, 2.0, -v123
	v_fma_f32 v35, v36, 2.0, -v54
	;; [unrolled: 1-line block ×4, first 2 shown]
	v_fmac_f32_e32 v46, 0x3f6c835e, v51
	v_fmac_f32_e32 v45, 0xbf6c835e, v41
	v_fmamk_f32 v51, v53, 0xbf6c835e, v47
	v_fma_f32 v52, v134, 2.0, -v130
	v_fma_f32 v36, v122, 2.0, -v136
	v_fma_f32 v54, v135, 2.0, -v124
	v_fma_f32 v41, v127, 2.0, -v50
	v_add_f32_e32 v40, v130, v50
	v_fmac_f32_e32 v34, 0x3f3504f3, v33
	v_fmamk_f32 v33, v33, 0xbf3504f3, v37
	v_fmamk_f32 v50, v35, 0xbf6c835e, v32
	v_fmac_f32_e32 v51, 0x3ec3ef15, v35
	v_sub_f32_e32 v36, v52, v36
	v_sub_f32_e32 v35, v54, v41
	;; [unrolled: 1-line block ×3, first 2 shown]
	v_fmac_f32_e32 v33, 0xbf3504f3, v131
	v_fmac_f32_e32 v50, 0xbec3ef15, v53
	v_fma_f32 v44, v55, 2.0, -v29
	v_fma_f32 v55, v52, 2.0, -v36
	;; [unrolled: 1-line block ×12, first 2 shown]
	v_add_nc_u32_e32 v32, 0x400, v105
	ds_write_b64 v106, v[54:55]
	ds_write2_b64 v105, v[52:53], v[41:42] offset0:26 offset1:52
	v_add_nc_u32_e32 v41, 0x800, v105
	ds_write2_b64 v105, v[102:103], v[37:38] offset0:78 offset1:104
	ds_write2_b64 v105, v[43:44], v[48:49] offset0:130 offset1:156
	;; [unrolled: 1-line block ×6, first 2 shown]
	ds_write_b64 v105, v[100:101] offset:3120
.LBB0_9:
	s_or_b32 exec_lo, exec_lo, s1
	s_add_u32 s4, s12, 0xd00
	s_addc_u32 s5, s13, 0
	s_waitcnt lgkmcnt(0)
	s_barrier
	buffer_gl0_inv
	s_clause 0xc
	global_load_dwordx2 v[32:33], v56, s[4:5]
	global_load_dwordx2 v[52:53], v56, s[4:5] offset:256
	global_load_dwordx2 v[54:55], v56, s[4:5] offset:512
	;; [unrolled: 1-line block ×7, first 2 shown]
	global_load_dwordx2 v[130:131], v111, s[4:5]
	global_load_dwordx2 v[110:111], v110, s[4:5]
	global_load_dwordx2 v[132:133], v109, s[4:5]
	global_load_dwordx2 v[134:135], v108, s[4:5]
	global_load_dwordx2 v[136:137], v107, s[4:5]
	ds_read_b64 v[34:35], v106
	v_lshlrev_b32_e32 v108, 3, v112
	v_add_nc_u32_e32 v109, 0x800, v105
	v_add_nc_u32_e32 v107, v108, v56
	s_waitcnt vmcnt(12) lgkmcnt(0)
	v_mul_f32_e32 v36, v35, v33
	v_mul_f32_e32 v37, v34, v33
	v_fma_f32 v36, v34, v32, -v36
	v_fmac_f32_e32 v37, v35, v32
	ds_write_b64 v106, v[36:37]
	ds_read2_b64 v[32:35], v105 offset0:32 offset1:64
	ds_read2_b64 v[36:39], v105 offset0:96 offset1:128
	;; [unrolled: 1-line block ×3, first 2 shown]
	ds_read_b64 v[138:139], v107 offset:1536
	ds_read2_b64 v[44:47], v109 offset1:32
	ds_read2_b64 v[48:51], v109 offset0:64 offset1:96
	ds_read_b64 v[140:141], v105 offset:3072
	s_waitcnt vmcnt(6) lgkmcnt(3)
	v_mul_f32_e32 v148, v139, v127
	v_mul_f32_e32 v142, v33, v53
	;; [unrolled: 1-line block ×12, first 2 shown]
	s_waitcnt vmcnt(5)
	v_mul_f32_e32 v149, v43, v129
	v_mul_f32_e32 v127, v42, v129
	s_waitcnt vmcnt(4) lgkmcnt(2)
	v_mul_f32_e32 v150, v45, v131
	v_mul_f32_e32 v129, v44, v131
	s_waitcnt vmcnt(3)
	v_mul_f32_e32 v151, v47, v111
	v_mul_f32_e32 v131, v46, v111
	s_waitcnt vmcnt(2) lgkmcnt(1)
	v_mul_f32_e32 v152, v49, v133
	v_mul_f32_e32 v143, v48, v133
	;; [unrolled: 6-line block ×3, first 2 shown]
	v_fma_f32 v55, v32, v52, -v142
	v_fmac_f32_e32 v56, v33, v52
	v_fma_f32 v52, v34, v54, -v144
	v_fmac_f32_e32 v53, v35, v54
	;; [unrolled: 2-line block ×12, first 2 shown]
	ds_write2_b64 v105, v[55:56], v[52:53] offset0:32 offset1:64
	ds_write2_b64 v105, v[111:112], v[102:103] offset0:96 offset1:128
	ds_write_b64 v107, v[124:125] offset:1536
	ds_write2_b64 v105, v[122:123], v[126:127] offset0:160 offset1:224
	ds_write2_b64 v109, v[128:129], v[130:131] offset1:32
	ds_write2_b64 v109, v[142:143], v[132:133] offset0:64 offset1:96
	ds_write_b64 v105, v[134:135] offset:3072
	s_waitcnt lgkmcnt(0)
	s_barrier
	buffer_gl0_inv
	ds_read_b64 v[52:53], v106
	ds_read2_b64 v[122:125], v105 offset0:32 offset1:64
	ds_read_b64 v[50:51], v105 offset:3072
	ds_read2_b64 v[36:39], v109 offset0:64 offset1:96
	ds_read2_b64 v[44:47], v105 offset0:96 offset1:128
	ds_read2_b64 v[40:43], v109 offset1:32
	ds_read2_b64 v[32:35], v105 offset0:160 offset1:224
	ds_read_b64 v[48:49], v107 offset:1536
	s_waitcnt lgkmcnt(0)
	s_barrier
	buffer_gl0_inv
	v_add_f32_e32 v55, v53, v123
	v_add_f32_e32 v54, v52, v122
	v_add_f32_e32 v102, v51, v123
	v_add_f32_e32 v127, v37, v45
	v_sub_f32_e32 v129, v45, v37
	v_add_f32_e32 v55, v55, v125
	v_add_f32_e32 v54, v54, v124
	;; [unrolled: 1-line block ×3, first 2 shown]
	v_sub_f32_e32 v128, v44, v36
	v_add_f32_e32 v135, v41, v33
	v_add_f32_e32 v45, v55, v45
	v_sub_f32_e32 v137, v33, v41
	v_add_f32_e32 v44, v54, v44
	v_sub_f32_e32 v110, v123, v51
	v_add_f32_e32 v56, v50, v122
	v_add_f32_e32 v45, v45, v47
	v_sub_f32_e32 v103, v122, v50
	v_add_f32_e32 v44, v44, v46
	v_add_f32_e32 v111, v38, v124
	;; [unrolled: 1-line block ×4, first 2 shown]
	v_sub_f32_e32 v122, v124, v38
	v_sub_f32_e32 v123, v125, v39
	v_add_f32_e32 v134, v40, v32
	v_sub_f32_e32 v136, v32, v40
	v_add_f32_e32 v33, v33, v49
	v_mul_f32_e32 v124, 0xbeedf032, v110
	v_mul_f32_e32 v125, 0x3f62ad3f, v102
	;; [unrolled: 1-line block ×12, first 2 shown]
	v_add_f32_e32 v32, v44, v32
	v_add_f32_e32 v33, v33, v35
	v_mul_f32_e32 v147, 0xbf52af12, v123
	v_mul_f32_e32 v148, 0x3f116cb1, v112
	;; [unrolled: 1-line block ×12, first 2 shown]
	v_fmamk_f32 v54, v56, 0x3f62ad3f, v124
	v_fmamk_f32 v55, v103, 0x3eedf032, v125
	v_fma_f32 v124, 0x3f62ad3f, v56, -v124
	v_fmac_f32_e32 v125, 0xbeedf032, v103
	v_fmamk_f32 v187, v56, 0x3f116cb1, v139
	v_fmamk_f32 v188, v103, 0x3f52af12, v140
	v_fma_f32 v139, 0x3f116cb1, v56, -v139
	v_fmac_f32_e32 v140, 0xbf52af12, v103
	;; [unrolled: 4-line block ×6, first 2 shown]
	v_add_f32_e32 v32, v32, v48
	v_add_f32_e32 v33, v33, v41
	;; [unrolled: 1-line block ×4, first 2 shown]
	v_sub_f32_e32 v132, v46, v42
	v_sub_f32_e32 v133, v47, v43
	v_mul_f32_e32 v157, 0xbf7e222b, v129
	v_mul_f32_e32 v158, 0x3df6dbef, v127
	;; [unrolled: 1-line block ×12, first 2 shown]
	v_fmamk_f32 v103, v111, 0x3f116cb1, v147
	v_fmamk_f32 v110, v122, 0x3f52af12, v148
	v_fma_f32 v147, 0x3f116cb1, v111, -v147
	v_fmac_f32_e32 v148, 0xbf52af12, v122
	v_fmamk_f32 v197, v111, 0xbeb58ec6, v149
	v_fma_f32 v149, 0xbeb58ec6, v111, -v149
	v_fmamk_f32 v199, v111, 0xbf788fa5, v151
	v_fma_f32 v151, 0xbf788fa5, v111, -v151
	v_fmamk_f32 v201, v111, 0xbf3f9e67, v153
	v_fma_f32 v153, 0xbf3f9e67, v111, -v153
	v_fmamk_f32 v203, v111, 0x3df6dbef, v155
	v_fma_f32 v155, 0x3df6dbef, v111, -v155
	v_fmamk_f32 v205, v111, 0x3f62ad3f, v123
	v_fmamk_f32 v206, v122, 0xbeedf032, v112
	v_fma_f32 v111, 0x3f62ad3f, v111, -v123
	v_fmac_f32_e32 v112, 0x3eedf032, v122
	v_add_f32_e32 v46, v52, v54
	v_add_f32_e32 v47, v53, v55
	v_add_f32_e32 v54, v52, v124
	v_add_f32_e32 v55, v53, v125
	v_add_f32_e32 v124, v52, v187
	v_add_f32_e32 v125, v53, v188
	v_add_f32_e32 v139, v52, v139
	v_add_f32_e32 v140, v53, v140
	v_add_f32_e32 v187, v52, v189
	v_add_f32_e32 v188, v53, v190
	v_add_f32_e32 v141, v52, v141
	v_add_f32_e32 v142, v53, v142
	v_add_f32_e32 v189, v52, v191
	v_add_f32_e32 v190, v53, v192
	v_add_f32_e32 v143, v52, v143
	v_add_f32_e32 v144, v53, v144
	v_add_f32_e32 v191, v52, v193
	v_add_f32_e32 v192, v53, v194
	v_add_f32_e32 v145, v52, v145
	v_add_f32_e32 v146, v53, v146
	v_add_f32_e32 v193, v52, v195
	v_add_f32_e32 v194, v53, v196
	v_add_f32_e32 v52, v52, v56
	v_add_f32_e32 v53, v53, v102
	v_add_f32_e32 v32, v32, v34
	v_add_f32_e32 v33, v33, v43
	v_mul_f32_e32 v167, 0xbf6f5d39, v133
	v_mul_f32_e32 v168, 0xbeb58ec6, v131
	;; [unrolled: 1-line block ×12, first 2 shown]
	v_fmamk_f32 v198, v122, 0x3f6f5d39, v150
	v_fmac_f32_e32 v150, 0xbf6f5d39, v122
	v_fmamk_f32 v200, v122, 0x3e750f2a, v152
	v_fmac_f32_e32 v152, 0xbe750f2a, v122
	;; [unrolled: 2-line block ×4, first 2 shown]
	v_fmamk_f32 v122, v126, 0x3df6dbef, v157
	v_fmamk_f32 v123, v128, 0x3f7e222b, v158
	v_fma_f32 v157, 0x3df6dbef, v126, -v157
	v_fmac_f32_e32 v158, 0xbf7e222b, v128
	v_fmamk_f32 v207, v126, 0xbf788fa5, v159
	v_fma_f32 v159, 0xbf788fa5, v126, -v159
	v_fmamk_f32 v209, v126, 0xbeb58ec6, v161
	v_fma_f32 v161, 0xbeb58ec6, v126, -v161
	;; [unrolled: 2-line block ×4, first 2 shown]
	v_fmamk_f32 v215, v126, 0xbf3f9e67, v129
	v_fmamk_f32 v216, v128, 0x3f29c268, v127
	v_fma_f32 v126, 0xbf3f9e67, v126, -v129
	v_fmac_f32_e32 v127, 0xbf29c268, v128
	v_add_f32_e32 v44, v103, v46
	v_add_f32_e32 v45, v110, v47
	v_add_f32_e32 v47, v148, v55
	v_add_f32_e32 v52, v111, v52
	v_add_f32_e32 v53, v112, v53
	v_add_f32_e32 v32, v32, v40
	v_add_f32_e32 v33, v33, v37
	v_sub_f32_e32 v138, v49, v35
	v_mul_f32_e32 v177, 0xbf29c268, v137
	v_mul_f32_e32 v178, 0xbf3f9e67, v135
	;; [unrolled: 1-line block ×7, first 2 shown]
	v_fmamk_f32 v208, v128, 0x3e750f2a, v160
	v_fmac_f32_e32 v160, 0xbe750f2a, v128
	v_fmamk_f32 v210, v128, 0xbf6f5d39, v162
	v_fmac_f32_e32 v162, 0x3f6f5d39, v128
	;; [unrolled: 2-line block ×4, first 2 shown]
	v_fmamk_f32 v128, v130, 0xbeb58ec6, v167
	v_fmamk_f32 v129, v132, 0x3f6f5d39, v168
	v_fma_f32 v167, 0xbeb58ec6, v130, -v167
	v_fmac_f32_e32 v168, 0xbf6f5d39, v132
	v_fmamk_f32 v217, v130, 0xbf3f9e67, v169
	v_fma_f32 v169, 0xbf3f9e67, v130, -v169
	v_fmamk_f32 v219, v130, 0x3f62ad3f, v171
	v_fma_f32 v171, 0x3f62ad3f, v130, -v171
	;; [unrolled: 2-line block ×4, first 2 shown]
	v_fmamk_f32 v225, v130, 0x3f116cb1, v133
	v_fmamk_f32 v226, v132, 0xbf52af12, v131
	v_fma_f32 v130, 0x3f116cb1, v130, -v133
	v_fmac_f32_e32 v131, 0x3f52af12, v132
	v_add_f32_e32 v46, v147, v54
	v_add_f32_e32 v54, v197, v124
	;; [unrolled: 1-line block ×13, first 2 shown]
	v_mul_f32_e32 v180, 0x3df6dbef, v135
	v_fmamk_f32 v218, v132, 0xbf29c268, v170
	v_fmac_f32_e32 v170, 0x3f29c268, v132
	v_fmamk_f32 v220, v132, 0xbeedf032, v172
	v_fmac_f32_e32 v172, 0x3eedf032, v132
	;; [unrolled: 2-line block ×4, first 2 shown]
	v_fmamk_f32 v132, v134, 0xbf3f9e67, v177
	v_fmamk_f32 v133, v136, 0x3f29c268, v178
	v_fmac_f32_e32 v178, 0xbf29c268, v136
	v_add_f32_e32 v102, v150, v140
	v_add_f32_e32 v110, v200, v188
	v_add_f32_e32 v124, v151, v141
	v_add_f32_e32 v139, v201, v189
	v_add_f32_e32 v46, v157, v46
	v_add_f32_e32 v54, v207, v54
	v_add_f32_e32 v55, v208, v55
	v_add_f32_e32 v56, v159, v56
	v_add_f32_e32 v103, v209, v103
	v_add_f32_e32 v44, v128, v44
	v_add_f32_e32 v45, v129, v45
	v_add_f32_e32 v47, v168, v47
	v_add_f32_e32 v52, v130, v52
	v_add_f32_e32 v53, v131, v53
	v_add_f32_e32 v32, v32, v36
	v_add_f32_e32 v33, v33, v51
	v_add_f32_e32 v51, v34, v48
	v_mul_f32_e32 v36, 0xbe750f2a, v138
	v_fma_f32 v35, 0xbeb58ec6, v134, -v137
	v_sub_f32_e32 v131, v48, v34
	v_mul_f32_e32 v37, 0xbf788fa5, v49
	v_mul_f32_e32 v182, 0x3f116cb1, v135
	v_fma_f32 v177, 0xbf3f9e67, v134, -v177
	v_fmamk_f32 v227, v134, 0x3df6dbef, v179
	v_fmamk_f32 v228, v136, 0xbf7e222b, v180
	v_fma_f32 v179, 0x3df6dbef, v134, -v179
	v_fmamk_f32 v229, v134, 0x3f116cb1, v181
	v_add_f32_e32 v140, v202, v190
	v_add_f32_e32 v141, v153, v143
	;; [unrolled: 1-line block ×16, first 2 shown]
	v_fmamk_f32 v34, v51, 0xbf788fa5, v36
	v_add_f32_e32 v133, v35, v52
	v_fmamk_f32 v35, v131, 0x3e750f2a, v37
	v_mul_f32_e32 v38, 0x3eedf032, v138
	v_fmac_f32_e32 v37, 0xbe750f2a, v131
	v_mul_f32_e32 v39, 0x3f62ad3f, v49
	v_mul_f32_e32 v184, 0xbf788fa5, v135
	;; [unrolled: 1-line block ×4, first 2 shown]
	v_fmac_f32_e32 v180, 0x3f7e222b, v136
	v_fmamk_f32 v230, v136, 0x3f52af12, v182
	v_fma_f32 v181, 0x3f116cb1, v134, -v181
	v_fmamk_f32 v231, v134, 0xbf788fa5, v183
	v_add_f32_e32 v125, v152, v142
	v_add_f32_e32 v142, v154, v144
	;; [unrolled: 1-line block ×17, first 2 shown]
	v_fma_f32 v36, 0xbf788fa5, v51, -v36
	v_add_f32_e32 v35, v35, v41
	v_fmamk_f32 v40, v51, 0x3f62ad3f, v38
	v_add_f32_e32 v103, v37, v45
	v_fmamk_f32 v37, v131, 0xbeedf032, v39
	v_mul_f32_e32 v41, 0xbf29c268, v138
	v_mul_f32_e32 v43, 0xbf3f9e67, v49
	;; [unrolled: 1-line block ×3, first 2 shown]
	v_fmamk_f32 v232, v136, 0xbe750f2a, v184
	v_fma_f32 v183, 0xbf788fa5, v134, -v183
	v_fmamk_f32 v233, v134, 0x3f62ad3f, v185
	v_fmamk_f32 v236, v136, 0x3f6f5d39, v135
	v_add_f32_e32 v146, v156, v146
	v_add_f32_e32 v147, v205, v193
	;; [unrolled: 1-line block ×12, first 2 shown]
	v_fmac_f32_e32 v135, 0xbf6f5d39, v136
	v_add_f32_e32 v102, v36, v44
	v_add_f32_e32 v36, v40, v46
	;; [unrolled: 1-line block ×3, first 2 shown]
	v_fmamk_f32 v42, v131, 0x3f29c268, v43
	v_fma_f32 v44, 0xbf3f9e67, v51, -v41
	v_fmamk_f32 v46, v51, 0x3f116cb1, v45
	v_mul_f32_e32 v47, 0x3f116cb1, v49
	v_mul_f32_e32 v48, 0xbf6f5d39, v138
	v_fmamk_f32 v234, v136, 0xbeedf032, v186
	v_fma_f32 v185, 0x3f62ad3f, v134, -v185
	v_fmamk_f32 v235, v134, 0xbeb58ec6, v137
	v_add_f32_e32 v112, v162, v125
	v_add_f32_e32 v125, v164, v142
	;; [unrolled: 1-line block ×12, first 2 shown]
	v_fma_f32 v38, 0x3f62ad3f, v51, -v38
	v_fmac_f32_e32 v39, 0x3eedf032, v131
	v_fmamk_f32 v40, v51, 0xbf3f9e67, v41
	v_add_f32_e32 v41, v42, v110
	v_add_f32_e32 v42, v44, v111
	;; [unrolled: 1-line block ×3, first 2 shown]
	v_fmamk_f32 v46, v131, 0xbf52af12, v47
	v_fma_f32 v50, 0x3f116cb1, v51, -v45
	v_mul_f32_e32 v52, 0xbeb58ec6, v49
	v_fmamk_f32 v53, v51, 0xbeb58ec6, v48
	v_fmac_f32_e32 v186, 0x3eedf032, v136
	v_add_f32_e32 v129, v176, v142
	v_add_f32_e32 v139, v225, v143
	;; [unrolled: 1-line block ×9, first 2 shown]
	v_fmamk_f32 v50, v131, 0x3f6f5d39, v52
	v_fma_f32 v54, 0xbeb58ec6, v51, -v48
	v_add_f32_e32 v48, v53, v126
	v_mul_f32_e32 v53, 0x3f7e222b, v138
	v_mul_f32_e32 v55, 0x3df6dbef, v49
	v_fmac_f32_e32 v184, 0x3e750f2a, v136
	v_add_f32_e32 v125, v174, v125
	v_fmac_f32_e32 v182, 0xbf52af12, v136
	v_add_f32_e32 v112, v172, v112
	v_add_f32_e32 v129, v186, v129
	;; [unrolled: 1-line block ×7, first 2 shown]
	v_fmac_f32_e32 v52, 0xbf6f5d39, v131
	v_fmamk_f32 v54, v51, 0x3df6dbef, v53
	v_fmamk_f32 v56, v131, 0xbf7e222b, v55
	v_fma_f32 v110, 0x3df6dbef, v51, -v53
	v_fmac_f32_e32 v55, 0x3f7e222b, v131
	v_add_f32_e32 v125, v184, v125
	v_fmac_f32_e32 v47, 0x3f52af12, v131
	v_add_f32_e32 v112, v182, v112
	v_fmac_f32_e32 v43, 0xbf29c268, v131
	v_add_f32_e32 v51, v52, v129
	v_add_f32_e32 v52, v54, v130
	v_add_f32_e32 v53, v56, v132
	;; [unrolled: 1-line block ×6, first 2 shown]
	ds_write2_b64 v113, v[32:33], v[34:35] offset1:1
	ds_write2_b64 v113, v[36:37], v[40:41] offset0:2 offset1:3
	ds_write2_b64 v113, v[44:45], v[48:49] offset0:4 offset1:5
	ds_write2_b64 v113, v[52:53], v[54:55] offset0:6 offset1:7
	ds_write2_b64 v113, v[50:51], v[46:47] offset0:8 offset1:9
	ds_write2_b64 v113, v[42:43], v[38:39] offset0:10 offset1:11
	ds_write_b64 v113, v[102:103] offset:96
	v_add_nc_u32_e32 v32, 0x400, v105
	s_waitcnt lgkmcnt(0)
	s_barrier
	buffer_gl0_inv
	ds_read2_b64 v[46:49], v105 offset0:160 offset1:208
	ds_read2_b64 v[40:43], v105 offset0:32 offset1:64
	;; [unrolled: 1-line block ×5, first 2 shown]
	ds_read_b64 v[44:45], v106
	ds_read_b64 v[50:51], v105 offset:2944
	s_and_saveexec_b32 s1, vcc_lo
	s_cbranch_execz .LBB0_11
; %bb.10:
	ds_read_b64 v[102:103], v107 offset:1536
	ds_read_b64 v[28:29], v105 offset:3200
.LBB0_11:
	s_or_b32 exec_lo, exec_lo, s1
	s_waitcnt lgkmcnt(6)
	v_mul_f32_e32 v52, v97, v49
	v_mul_f32_e32 v97, v97, v48
	s_waitcnt lgkmcnt(4)
	v_mul_f32_e32 v109, v95, v37
	v_mul_f32_e32 v95, v95, v36
	s_waitcnt lgkmcnt(0)
	v_fmac_f32_e32 v52, v96, v48
	v_fma_f32 v48, v96, v49, -v97
	v_fmac_f32_e32 v109, v94, v36
	v_mul_f32_e32 v49, v93, v39
	v_mul_f32_e32 v36, v93, v38
	;; [unrolled: 1-line block ×4, first 2 shown]
	v_fma_f32 v37, v94, v37, -v95
	v_fmac_f32_e32 v49, v92, v38
	v_fma_f32 v38, v92, v39, -v36
	v_mul_f32_e32 v39, v89, v35
	v_fmac_f32_e32 v93, v90, v32
	v_fma_f32 v90, v90, v33, -v91
	v_mul_f32_e32 v32, v89, v34
	v_mul_f32_e32 v89, v87, v51
	;; [unrolled: 1-line block ×3, first 2 shown]
	v_fmac_f32_e32 v39, v88, v34
	v_mul_f32_e32 v87, v85, v29
	v_mul_f32_e32 v34, v85, v28
	v_sub_f32_e32 v36, v40, v109
	v_fma_f32 v88, v88, v35, -v32
	v_fmac_f32_e32 v89, v86, v50
	v_fma_f32 v86, v86, v51, -v33
	v_fmac_f32_e32 v87, v84, v28
	v_sub_f32_e32 v32, v44, v52
	v_sub_f32_e32 v33, v45, v48
	v_fma_f32 v29, v84, v29, -v34
	v_sub_f32_e32 v37, v41, v37
	v_fma_f32 v34, v40, 2.0, -v36
	v_sub_f32_e32 v40, v53, v93
	v_fma_f32 v84, v44, 2.0, -v32
	v_fma_f32 v85, v45, 2.0, -v33
	v_sub_f32_e32 v48, v42, v49
	v_fma_f32 v35, v41, 2.0, -v37
	v_sub_f32_e32 v49, v43, v38
	v_sub_f32_e32 v41, v54, v90
	;; [unrolled: 1-line block ×3, first 2 shown]
	v_fma_f32 v50, v53, 2.0, -v40
	v_sub_f32_e32 v53, v56, v88
	v_sub_f32_e32 v44, v46, v89
	;; [unrolled: 1-line block ×5, first 2 shown]
	v_fma_f32 v38, v42, 2.0, -v48
	v_fma_f32 v39, v43, 2.0, -v49
	;; [unrolled: 1-line block ×9, first 2 shown]
	s_barrier
	buffer_gl0_inv
	ds_write2_b64 v120, v[84:85], v[32:33] offset1:13
	ds_write2_b64 v121, v[34:35], v[36:37] offset1:13
	;; [unrolled: 1-line block ×6, first 2 shown]
	s_and_saveexec_b32 s1, vcc_lo
	s_cbranch_execz .LBB0_13
; %bb.12:
	v_mov_b32_e32 v56, 26
	v_mul_u32_u24_sdwa v56, v114, v56 dst_sel:DWORD dst_unused:UNUSED_PAD src0_sel:WORD_0 src1_sel:DWORD
	v_add_nc_u32_sdwa v56, v56, v115 dst_sel:DWORD dst_unused:UNUSED_PAD src0_sel:DWORD src1_sel:BYTE_0
	v_lshl_add_u32 v56, v56, 3, v108
	ds_write2_b64 v56, v[46:47], v[28:29] offset1:13
.LBB0_13:
	s_or_b32 exec_lo, exec_lo, s1
	s_waitcnt lgkmcnt(0)
	s_barrier
	buffer_gl0_inv
	s_and_saveexec_b32 s1, s0
	s_cbranch_execz .LBB0_15
; %bb.14:
	v_add_nc_u32_e32 v28, 0x400, v105
	v_add_nc_u32_e32 v29, 0x800, v105
	ds_read2_b64 v[32:35], v105 offset0:26 offset1:52
	ds_read2_b64 v[36:39], v105 offset0:78 offset1:104
	;; [unrolled: 1-line block ×7, first 2 shown]
	ds_read_b64 v[84:85], v106
	ds_read_b64 v[100:101], v105 offset:3120
.LBB0_15:
	s_or_b32 exec_lo, exec_lo, s1
	s_and_saveexec_b32 s1, s0
	s_cbranch_execz .LBB0_17
; %bb.16:
	s_waitcnt lgkmcnt(6)
	v_mul_f32_e32 v87, v15, v51
	s_waitcnt lgkmcnt(2)
	v_mul_f32_e32 v88, v27, v31
	v_mul_f32_e32 v15, v15, v50
	;; [unrolled: 1-line block ×4, first 2 shown]
	v_fmac_f32_e32 v87, v14, v50
	v_fmac_f32_e32 v88, v26, v30
	v_fma_f32 v14, v14, v51, -v15
	v_fma_f32 v15, v26, v31, -v27
	v_mul_f32_e32 v26, v1, v41
	v_mul_f32_e32 v1, v1, v40
	;; [unrolled: 1-line block ×5, first 2 shown]
	v_fmac_f32_e32 v26, v0, v40
	s_waitcnt lgkmcnt(0)
	v_mul_f32_e32 v40, v99, v100
	v_fma_f32 v0, v0, v41, -v1
	v_mul_f32_e32 v86, v23, v54
	v_fma_f32 v56, v10, v35, -v56
	;; [unrolled: 2-line block ×3, first 2 shown]
	v_mul_f32_e32 v90, v7, v39
	v_mul_f32_e32 v23, v23, v55
	v_fmac_f32_e32 v11, v10, v34
	v_mul_f32_e32 v10, v5, v36
	v_fma_f32 v31, v8, v33, -v31
	v_mul_f32_e32 v5, v5, v37
	v_fmac_f32_e32 v9, v8, v32
	v_sub_f32_e32 v8, v0, v1
	v_mul_f32_e32 v1, v7, v38
	v_mul_f32_e32 v7, v19, v46
	;; [unrolled: 1-line block ×3, first 2 shown]
	v_fma_f32 v86, v22, v55, -v86
	v_fma_f32 v89, v2, v43, -v89
	v_fmac_f32_e32 v90, v6, v38
	v_fmac_f32_e32 v23, v22, v54
	v_mul_f32_e32 v22, v17, v44
	v_fma_f32 v10, v4, v37, -v10
	v_mul_f32_e32 v27, v99, v101
	v_mul_f32_e32 v34, v21, v52
	;; [unrolled: 1-line block ×4, first 2 shown]
	v_fmac_f32_e32 v5, v4, v36
	v_mul_f32_e32 v4, v17, v45
	v_mul_f32_e32 v13, v13, v48
	;; [unrolled: 1-line block ×4, first 2 shown]
	v_fma_f32 v6, v6, v39, -v1
	v_fma_f32 v1, v18, v47, -v7
	v_fmac_f32_e32 v3, v2, v42
	v_mul_f32_e32 v91, v19, v47
	v_sub_f32_e32 v89, v85, v89
	v_fma_f32 v22, v16, v45, -v22
	v_fmac_f32_e32 v27, v98, v100
	v_fmac_f32_e32 v35, v12, v48
	;; [unrolled: 1-line block ×4, first 2 shown]
	v_fma_f32 v12, v12, v49, -v13
	v_fma_f32 v13, v24, v29, -v17
	v_fmac_f32_e32 v21, v20, v52
	v_sub_f32_e32 v2, v6, v1
	v_sub_f32_e32 v7, v84, v3
	v_fmac_f32_e32 v91, v18, v46
	v_fma_f32 v34, v20, v53, -v34
	v_sub_f32_e32 v15, v14, v15
	v_sub_f32_e32 v23, v11, v23
	;; [unrolled: 1-line block ×8, first 2 shown]
	v_add_f32_e32 v21, v2, v7
	v_fma_f32 v24, v85, 2.0, -v89
	v_fma_f32 v2, v6, 2.0, -v2
	v_sub_f32_e32 v86, v56, v86
	v_sub_f32_e32 v88, v87, v88
	;; [unrolled: 1-line block ×4, first 2 shown]
	v_add_f32_e32 v51, v15, v23
	v_sub_f32_e32 v37, v22, v27
	v_add_f32_e32 v19, v8, v4
	v_add_f32_e32 v20, v13, v17
	v_fma_f32 v6, v12, 2.0, -v13
	v_fma_f32 v12, v5, 2.0, -v4
	;; [unrolled: 1-line block ×3, first 2 shown]
	v_sub_f32_e32 v27, v24, v2
	v_fma_f32 v29, v9, 2.0, -v17
	v_fma_f32 v2, v35, 2.0, -v50
	v_sub_f32_e32 v92, v86, v88
	v_sub_f32_e32 v93, v89, v91
	;; [unrolled: 1-line block ×3, first 2 shown]
	v_fmamk_f32 v18, v19, 0x3f3504f3, v20
	v_fma_f32 v11, v11, 2.0, -v23
	v_fma_f32 v3, v87, 2.0, -v88
	;; [unrolled: 1-line block ×3, first 2 shown]
	v_fmamk_f32 v26, v51, 0x3f3504f3, v21
	v_fma_f32 v10, v10, 2.0, -v22
	v_fma_f32 v0, v0, 2.0, -v8
	v_sub_f32_e32 v35, v29, v2
	v_fma_f32 v38, v56, 2.0, -v86
	v_fma_f32 v2, v14, 2.0, -v15
	;; [unrolled: 1-line block ×4, first 2 shown]
	v_fmamk_f32 v30, v92, 0x3f3504f3, v93
	v_fmamk_f32 v16, v37, 0x3f3504f3, v54
	v_fmac_f32_e32 v18, 0x3f3504f3, v37
	v_sub_f32_e32 v13, v11, v3
	v_sub_f32_e32 v28, v25, v6
	;; [unrolled: 1-line block ×3, first 2 shown]
	v_fmac_f32_e32 v26, 0x3f3504f3, v92
	v_sub_f32_e32 v33, v10, v0
	v_sub_f32_e32 v15, v38, v2
	;; [unrolled: 1-line block ×3, first 2 shown]
	v_fma_f32 v9, v23, 2.0, -v51
	v_fma_f32 v23, v34, 2.0, -v54
	;; [unrolled: 1-line block ×4, first 2 shown]
	v_fmac_f32_e32 v30, 0xbf3504f3, v51
	v_fmac_f32_e32 v16, 0xbf3504f3, v19
	v_sub_f32_e32 v31, v27, v13
	v_sub_f32_e32 v32, v28, v6
	v_fmamk_f32 v0, v18, 0x3f6c835e, v26
	v_add_f32_e32 v36, v33, v35
	v_fma_f32 v22, v22, 2.0, -v37
	v_add_f32_e32 v41, v15, v39
	v_fmamk_f32 v44, v4, 0xbf3504f3, v34
	v_fma_f32 v46, v14, 2.0, -v39
	v_fma_f32 v25, v25, 2.0, -v28
	;; [unrolled: 1-line block ×3, first 2 shown]
	v_fmamk_f32 v1, v16, 0x3f6c835e, v30
	v_fmac_f32_e32 v0, 0x3ec3ef15, v16
	v_fma_f32 v40, v89, 2.0, -v93
	v_fma_f32 v8, v86, 2.0, -v92
	v_fma_f32 v37, v7, 2.0, -v21
	v_fmamk_f32 v43, v22, 0xbf3504f3, v23
	v_fmamk_f32 v2, v36, 0x3f3504f3, v41
	v_fmac_f32_e32 v44, 0x3f3504f3, v22
	v_fma_f32 v22, v24, 2.0, -v27
	v_fma_f32 v15, v38, 2.0, -v15
	v_sub_f32_e32 v47, v25, v14
	v_fma_f32 v14, v27, 2.0, -v31
	v_fma_f32 v27, v28, 2.0, -v32
	v_fmac_f32_e32 v1, 0xbec3ef15, v18
	v_fma_f32 v24, v29, 2.0, -v35
	v_fma_f32 v12, v12, 2.0, -v6
	v_fmamk_f32 v3, v32, 0x3f3504f3, v31
	v_fmamk_f32 v42, v8, 0xbf3504f3, v40
	;; [unrolled: 1-line block ×3, first 2 shown]
	v_fmac_f32_e32 v43, 0xbf3504f3, v4
	v_fma_f32 v4, v26, 2.0, -v0
	v_fmac_f32_e32 v2, 0x3f3504f3, v32
	v_sub_f32_e32 v29, v22, v15
	v_fma_f32 v20, v20, 2.0, -v18
	v_fma_f32 v32, v21, 2.0, -v26
	v_fmamk_f32 v15, v27, 0xbf3504f3, v14
	v_fma_f32 v26, v35, 2.0, -v36
	v_fma_f32 v5, v30, 2.0, -v1
	v_sub_f32_e32 v38, v24, v12
	v_fma_f32 v12, v11, 2.0, -v13
	v_fma_f32 v30, v93, 2.0, -v30
	;; [unrolled: 1-line block ×3, first 2 shown]
	v_fmac_f32_e32 v3, 0xbf3504f3, v36
	v_fmac_f32_e32 v42, 0xbf3504f3, v9
	;; [unrolled: 1-line block ×3, first 2 shown]
	v_fmamk_f32 v18, v20, 0xbec3ef15, v32
	v_fmac_f32_e32 v15, 0xbf3504f3, v26
	v_fma_f32 v28, v39, 2.0, -v41
	v_sub_f32_e32 v13, v29, v38
	v_sub_f32_e32 v33, v46, v12
	v_fmamk_f32 v19, v16, 0xbec3ef15, v30
	v_fma_f32 v7, v31, 2.0, -v3
	v_fma_f32 v31, v40, 2.0, -v42
	;; [unrolled: 1-line block ×3, first 2 shown]
	v_fmac_f32_e32 v18, 0x3f6c835e, v16
	v_fma_f32 v21, v14, 2.0, -v15
	v_fmamk_f32 v14, v26, 0xbf3504f3, v28
	v_fma_f32 v16, v34, 2.0, -v44
	v_fma_f32 v26, v37, 2.0, -v45
	;; [unrolled: 1-line block ×3, first 2 shown]
	v_fmac_f32_e32 v19, 0xbf6c835e, v20
	v_fma_f32 v29, v22, 2.0, -v29
	v_fma_f32 v20, v25, 2.0, -v47
	;; [unrolled: 1-line block ×4, first 2 shown]
	v_fmamk_f32 v23, v35, 0xbf6c835e, v31
	v_fmamk_f32 v22, v16, 0xbf6c835e, v26
	;; [unrolled: 1-line block ×4, first 2 shown]
	v_fmac_f32_e32 v14, 0x3f3504f3, v27
	v_sub_f32_e32 v25, v29, v20
	v_sub_f32_e32 v24, v34, v24
	v_fmac_f32_e32 v23, 0xbec3ef15, v16
	v_fmac_f32_e32 v22, 0x3ec3ef15, v35
	v_add_f32_e32 v12, v33, v47
	v_fmac_f32_e32 v9, 0xbf6c835e, v44
	v_fmac_f32_e32 v8, 0x3f6c835e, v43
	v_fma_f32 v20, v28, 2.0, -v14
	v_fma_f32 v29, v29, 2.0, -v25
	;; [unrolled: 1-line block ×11, first 2 shown]
	ds_write_b64 v106, v[28:29]
	ds_write2_b64 v105, v[26:27], v[20:21] offset0:26 offset1:52
	v_add_nc_u32_e32 v20, 0x400, v105
	v_add_nc_u32_e32 v21, 0x800, v105
	ds_write2_b64 v105, v[30:31], v[16:17] offset0:78 offset1:104
	ds_write2_b64 v105, v[10:11], v[6:7] offset0:130 offset1:156
	;; [unrolled: 1-line block ×6, first 2 shown]
	ds_write_b64 v105, v[0:1] offset:3120
.LBB0_17:
	s_or_b32 exec_lo, exec_lo, s1
	s_waitcnt lgkmcnt(0)
	s_barrier
	buffer_gl0_inv
	ds_read_b64 v[12:13], v106
	ds_read2_b64 v[0:3], v105 offset0:32 offset1:64
	ds_read2_b64 v[4:7], v105 offset0:96 offset1:128
	;; [unrolled: 1-line block ×3, first 2 shown]
	ds_read_b64 v[18:19], v107 offset:1536
	ds_read_b64 v[20:21], v105 offset:3072
	v_mad_u64_u32 v[14:15], null, s10, v57, 0
	v_mad_u64_u32 v[16:17], null, s8, v104, 0
	s_mov_b32 s4, 0x13b13b14
	s_mov_b32 s5, 0x3f63b13b
	s_lshl_b64 s[0:1], s[8:9], 8
	s_waitcnt lgkmcnt(3)
	v_mul_f32_e32 v32, v77, v7
	v_mul_f32_e32 v22, v83, v13
	;; [unrolled: 1-line block ×7, first 2 shown]
	v_fmac_f32_e32 v22, v82, v12
	v_fma_f32 v12, v82, v13, -v23
	v_fmac_f32_e32 v24, v80, v0
	v_fma_f32 v25, v80, v1, -v25
	v_fmac_f32_e32 v26, v78, v2
	v_cvt_f64_f32_e32 v[0:1], v22
	v_cvt_f64_f32_e32 v[12:13], v12
	v_fma_f32 v3, v78, v3, -v27
	v_cvt_f64_f32_e32 v[22:23], v24
	v_cvt_f64_f32_e32 v[24:25], v25
	v_cvt_f64_f32_e32 v[26:27], v26
	v_mov_b32_e32 v2, v15
	v_cvt_f64_f32_e32 v[28:29], v3
	v_mov_b32_e32 v3, v17
	v_mul_f32_e32 v17, v75, v4
	v_mul_f32_e32 v33, v77, v6
	v_fmac_f32_e32 v32, v76, v6
	s_waitcnt lgkmcnt(2)
	v_mul_f32_e32 v34, v73, v9
	v_mad_u64_u32 v[30:31], null, s11, v57, v[2:3]
	v_mul_f32_e32 v31, v75, v5
	v_mad_u64_u32 v[2:3], null, s9, v104, v[3:4]
	v_mul_f32_e32 v35, v73, v8
	v_fmac_f32_e32 v34, v72, v8
	v_fmac_f32_e32 v31, v74, v4
	v_mov_b32_e32 v15, v30
	v_mul_f64 v[0:1], v[0:1], s[4:5]
	v_mul_f64 v[12:13], v[12:13], s[4:5]
	s_waitcnt lgkmcnt(1)
	v_mul_f32_e32 v37, v71, v18
	v_mul_f64 v[22:23], v[22:23], s[4:5]
	v_mul_f64 v[24:25], v[24:25], s[4:5]
	;; [unrolled: 1-line block ×3, first 2 shown]
	v_mul_f32_e32 v36, v71, v19
	v_mul_f64 v[26:27], v[28:29], s[4:5]
	v_fma_f32 v28, v74, v5, -v17
	v_cvt_f64_f32_e32 v[5:6], v31
	v_mov_b32_e32 v17, v2
	v_fma_f32 v2, v76, v7, -v33
	v_lshlrev_b64 v[7:8], 3, v[14:15]
	v_cvt_f64_f32_e32 v[28:29], v28
	v_fma_f32 v9, v72, v9, -v35
	v_lshlrev_b64 v[14:15], 3, v[16:17]
	v_cvt_f64_f32_e32 v[30:31], v2
	v_cvt_f64_f32_e32 v[16:17], v32
	v_add_co_u32 v7, vcc_lo, s2, v7
	v_add_co_ci_u32_e32 v8, vcc_lo, s3, v8, vcc_lo
	v_cvt_f32_f64_e32 v0, v[0:1]
	v_cvt_f32_f64_e32 v1, v[12:13]
	v_add_co_u32 v7, vcc_lo, v7, v14
	v_cvt_f32_f64_e32 v12, v[22:23]
	v_cvt_f32_f64_e32 v13, v[24:25]
	;; [unrolled: 1-line block ×4, first 2 shown]
	v_add_co_ci_u32_e32 v8, vcc_lo, v8, v15, vcc_lo
	v_mul_f64 v[4:5], v[5:6], s[4:5]
	v_add_co_u32 v24, vcc_lo, v7, s0
	v_add_co_ci_u32_e32 v25, vcc_lo, s1, v8, vcc_lo
	v_mul_f64 v[14:15], v[28:29], s[4:5]
	v_add_co_u32 v28, vcc_lo, v24, s0
	v_add_co_ci_u32_e32 v29, vcc_lo, s1, v25, vcc_lo
	global_store_dwordx2 v[7:8], v[0:1], off
	global_store_dwordx2 v[24:25], v[12:13], off
	v_fma_f32 v0, v70, v19, -v37
	v_add_nc_u32_e32 v6, 0x800, v105
	v_fmac_f32_e32 v36, v70, v18
	global_store_dwordx2 v[28:29], v[2:3], off
	v_cvt_f64_f32_e32 v[8:9], v9
	v_cvt_f64_f32_e32 v[18:19], v0
	v_cvt_f32_f64_e32 v24, v[4:5]
	ds_read2_b64 v[0:3], v6 offset1:32
	ds_read2_b64 v[4:7], v6 offset0:64 offset1:96
	v_cvt_f64_f32_e32 v[12:13], v36
	v_mul_f64 v[16:17], v[16:17], s[4:5]
	v_mul_f64 v[26:27], v[30:31], s[4:5]
	v_cvt_f64_f32_e32 v[22:23], v34
	v_cvt_f32_f64_e32 v25, v[14:15]
	v_add_co_u32 v14, vcc_lo, v28, s0
	v_add_co_ci_u32_e32 v15, vcc_lo, s1, v29, vcc_lo
	v_mul_f32_e32 v28, v65, v11
	v_mul_f32_e32 v29, v65, v10
	s_waitcnt lgkmcnt(2)
	v_mul_f32_e32 v38, v69, v21
	v_mul_f32_e32 v39, v69, v20
	v_fmac_f32_e32 v28, v64, v10
	v_fma_f32 v29, v64, v11, -v29
	v_fmac_f32_e32 v38, v68, v20
	v_mul_f64 v[8:9], v[8:9], s[4:5]
	s_waitcnt lgkmcnt(1)
	v_mul_f32_e32 v30, v61, v1
	s_waitcnt lgkmcnt(0)
	v_mul_f32_e32 v34, v59, v5
	v_mul_f32_e32 v31, v61, v0
	;; [unrolled: 1-line block ×5, first 2 shown]
	v_fmac_f32_e32 v34, v58, v4
	v_mul_f32_e32 v4, v59, v4
	v_mul_f32_e32 v37, v67, v6
	v_mul_f64 v[10:11], v[12:13], s[4:5]
	v_mul_f64 v[12:13], v[18:19], s[4:5]
	v_cvt_f64_f32_e32 v[18:19], v28
	v_cvt_f64_f32_e32 v[28:29], v29
	v_fmac_f32_e32 v30, v60, v0
	v_fma_f32 v31, v60, v1, -v31
	v_cvt_f32_f64_e32 v16, v[16:17]
	v_cvt_f32_f64_e32 v17, v[26:27]
	v_fmac_f32_e32 v32, v62, v2
	v_fma_f32 v33, v62, v3, -v33
	v_fma_f32 v4, v58, v5, -v4
	v_fmac_f32_e32 v36, v66, v6
	v_fma_f32 v37, v66, v7, -v37
	v_cvt_f64_f32_e32 v[0:1], v30
	v_cvt_f64_f32_e32 v[2:3], v31
	v_fma_f32 v39, v68, v21, -v39
	v_mul_f64 v[22:23], v[22:23], s[4:5]
	v_cvt_f64_f32_e32 v[30:31], v32
	v_cvt_f64_f32_e32 v[32:33], v33
	;; [unrolled: 1-line block ×8, first 2 shown]
	v_add_co_u32 v26, vcc_lo, v14, s0
	v_add_co_ci_u32_e32 v27, vcc_lo, s1, v15, vcc_lo
	global_store_dwordx2 v[14:15], v[24:25], off
	global_store_dwordx2 v[26:27], v[16:17], off
	v_cvt_f32_f64_e32 v15, v[8:9]
	v_mul_f64 v[8:9], v[18:19], s[4:5]
	v_mul_f64 v[16:17], v[28:29], s[4:5]
	;; [unrolled: 1-line block ×4, first 2 shown]
	v_cvt_f32_f64_e32 v10, v[10:11]
	v_cvt_f32_f64_e32 v14, v[22:23]
	;; [unrolled: 1-line block ×3, first 2 shown]
	v_mul_f64 v[12:13], v[30:31], s[4:5]
	v_mul_f64 v[22:23], v[32:33], s[4:5]
	v_add_co_u32 v18, vcc_lo, v26, s0
	v_mul_f64 v[24:25], v[34:35], s[4:5]
	v_mul_f64 v[4:5], v[4:5], s[4:5]
	;; [unrolled: 1-line block ×4, first 2 shown]
	v_add_co_ci_u32_e32 v19, vcc_lo, s1, v27, vcc_lo
	v_mul_f64 v[26:27], v[36:37], s[4:5]
	v_mul_f64 v[28:29], v[38:39], s[4:5]
	v_add_co_u32 v30, vcc_lo, v18, s0
	v_add_co_ci_u32_e32 v31, vcc_lo, s1, v19, vcc_lo
	v_cvt_f32_f64_e32 v8, v[8:9]
	v_cvt_f32_f64_e32 v9, v[16:17]
	v_add_co_u32 v16, vcc_lo, v30, s0
	v_add_co_ci_u32_e32 v17, vcc_lo, s1, v31, vcc_lo
	v_cvt_f32_f64_e32 v0, v[0:1]
	v_cvt_f32_f64_e32 v1, v[2:3]
	;; [unrolled: 4-line block ×3, first 2 shown]
	v_cvt_f32_f64_e32 v22, v[24:25]
	v_cvt_f32_f64_e32 v23, v[4:5]
	;; [unrolled: 1-line block ×6, first 2 shown]
	v_add_co_u32 v20, vcc_lo, v2, s0
	v_add_co_ci_u32_e32 v21, vcc_lo, s1, v3, vcc_lo
	global_store_dwordx2 v[18:19], v[14:15], off
	v_add_co_u32 v14, vcc_lo, v20, s0
	v_add_co_ci_u32_e32 v15, vcc_lo, s1, v21, vcc_lo
	global_store_dwordx2 v[30:31], v[10:11], off
	;; [unrolled: 3-line block ×4, first 2 shown]
	global_store_dwordx2 v[20:21], v[12:13], off
	global_store_dwordx2 v[14:15], v[22:23], off
	;; [unrolled: 1-line block ×4, first 2 shown]
.LBB0_18:
	s_endpgm
	.section	.rodata,"a",@progbits
	.p2align	6, 0x0
	.amdhsa_kernel bluestein_single_back_len416_dim1_sp_op_CI_CI
		.amdhsa_group_segment_fixed_size 6656
		.amdhsa_private_segment_fixed_size 0
		.amdhsa_kernarg_size 104
		.amdhsa_user_sgpr_count 6
		.amdhsa_user_sgpr_private_segment_buffer 1
		.amdhsa_user_sgpr_dispatch_ptr 0
		.amdhsa_user_sgpr_queue_ptr 0
		.amdhsa_user_sgpr_kernarg_segment_ptr 1
		.amdhsa_user_sgpr_dispatch_id 0
		.amdhsa_user_sgpr_flat_scratch_init 0
		.amdhsa_user_sgpr_private_segment_size 0
		.amdhsa_wavefront_size32 1
		.amdhsa_uses_dynamic_stack 0
		.amdhsa_system_sgpr_private_segment_wavefront_offset 0
		.amdhsa_system_sgpr_workgroup_id_x 1
		.amdhsa_system_sgpr_workgroup_id_y 0
		.amdhsa_system_sgpr_workgroup_id_z 0
		.amdhsa_system_sgpr_workgroup_info 0
		.amdhsa_system_vgpr_workitem_id 0
		.amdhsa_next_free_vgpr 237
		.amdhsa_next_free_sgpr 20
		.amdhsa_reserve_vcc 1
		.amdhsa_reserve_flat_scratch 0
		.amdhsa_float_round_mode_32 0
		.amdhsa_float_round_mode_16_64 0
		.amdhsa_float_denorm_mode_32 3
		.amdhsa_float_denorm_mode_16_64 3
		.amdhsa_dx10_clamp 1
		.amdhsa_ieee_mode 1
		.amdhsa_fp16_overflow 0
		.amdhsa_workgroup_processor_mode 1
		.amdhsa_memory_ordered 1
		.amdhsa_forward_progress 0
		.amdhsa_shared_vgpr_count 0
		.amdhsa_exception_fp_ieee_invalid_op 0
		.amdhsa_exception_fp_denorm_src 0
		.amdhsa_exception_fp_ieee_div_zero 0
		.amdhsa_exception_fp_ieee_overflow 0
		.amdhsa_exception_fp_ieee_underflow 0
		.amdhsa_exception_fp_ieee_inexact 0
		.amdhsa_exception_int_div_zero 0
	.end_amdhsa_kernel
	.text
.Lfunc_end0:
	.size	bluestein_single_back_len416_dim1_sp_op_CI_CI, .Lfunc_end0-bluestein_single_back_len416_dim1_sp_op_CI_CI
                                        ; -- End function
	.section	.AMDGPU.csdata,"",@progbits
; Kernel info:
; codeLenInByte = 13316
; NumSgprs: 22
; NumVgprs: 237
; ScratchSize: 0
; MemoryBound: 0
; FloatMode: 240
; IeeeMode: 1
; LDSByteSize: 6656 bytes/workgroup (compile time only)
; SGPRBlocks: 2
; VGPRBlocks: 29
; NumSGPRsForWavesPerEU: 22
; NumVGPRsForWavesPerEU: 237
; Occupancy: 4
; WaveLimiterHint : 1
; COMPUTE_PGM_RSRC2:SCRATCH_EN: 0
; COMPUTE_PGM_RSRC2:USER_SGPR: 6
; COMPUTE_PGM_RSRC2:TRAP_HANDLER: 0
; COMPUTE_PGM_RSRC2:TGID_X_EN: 1
; COMPUTE_PGM_RSRC2:TGID_Y_EN: 0
; COMPUTE_PGM_RSRC2:TGID_Z_EN: 0
; COMPUTE_PGM_RSRC2:TIDIG_COMP_CNT: 0
	.text
	.p2alignl 6, 3214868480
	.fill 48, 4, 3214868480
	.type	__hip_cuid_93b706fa5f9920ed,@object ; @__hip_cuid_93b706fa5f9920ed
	.section	.bss,"aw",@nobits
	.globl	__hip_cuid_93b706fa5f9920ed
__hip_cuid_93b706fa5f9920ed:
	.byte	0                               ; 0x0
	.size	__hip_cuid_93b706fa5f9920ed, 1

	.ident	"AMD clang version 19.0.0git (https://github.com/RadeonOpenCompute/llvm-project roc-6.4.0 25133 c7fe45cf4b819c5991fe208aaa96edf142730f1d)"
	.section	".note.GNU-stack","",@progbits
	.addrsig
	.addrsig_sym __hip_cuid_93b706fa5f9920ed
	.amdgpu_metadata
---
amdhsa.kernels:
  - .args:
      - .actual_access:  read_only
        .address_space:  global
        .offset:         0
        .size:           8
        .value_kind:     global_buffer
      - .actual_access:  read_only
        .address_space:  global
        .offset:         8
        .size:           8
        .value_kind:     global_buffer
      - .actual_access:  read_only
        .address_space:  global
        .offset:         16
        .size:           8
        .value_kind:     global_buffer
      - .actual_access:  read_only
        .address_space:  global
        .offset:         24
        .size:           8
        .value_kind:     global_buffer
      - .actual_access:  read_only
        .address_space:  global
        .offset:         32
        .size:           8
        .value_kind:     global_buffer
      - .offset:         40
        .size:           8
        .value_kind:     by_value
      - .address_space:  global
        .offset:         48
        .size:           8
        .value_kind:     global_buffer
      - .address_space:  global
        .offset:         56
        .size:           8
        .value_kind:     global_buffer
      - .address_space:  global
        .offset:         64
        .size:           8
        .value_kind:     global_buffer
      - .address_space:  global
        .offset:         72
        .size:           8
        .value_kind:     global_buffer
      - .offset:         80
        .size:           4
        .value_kind:     by_value
      - .address_space:  global
        .offset:         88
        .size:           8
        .value_kind:     global_buffer
      - .address_space:  global
        .offset:         96
        .size:           8
        .value_kind:     global_buffer
    .group_segment_fixed_size: 6656
    .kernarg_segment_align: 8
    .kernarg_segment_size: 104
    .language:       OpenCL C
    .language_version:
      - 2
      - 0
    .max_flat_workgroup_size: 64
    .name:           bluestein_single_back_len416_dim1_sp_op_CI_CI
    .private_segment_fixed_size: 0
    .sgpr_count:     22
    .sgpr_spill_count: 0
    .symbol:         bluestein_single_back_len416_dim1_sp_op_CI_CI.kd
    .uniform_work_group_size: 1
    .uses_dynamic_stack: false
    .vgpr_count:     237
    .vgpr_spill_count: 0
    .wavefront_size: 32
    .workgroup_processor_mode: 1
amdhsa.target:   amdgcn-amd-amdhsa--gfx1030
amdhsa.version:
  - 1
  - 2
...

	.end_amdgpu_metadata
